;; amdgpu-corpus repo=ROCm/rocFFT kind=compiled arch=gfx950 opt=O3
	.text
	.amdgcn_target "amdgcn-amd-amdhsa--gfx950"
	.amdhsa_code_object_version 6
	.protected	fft_rtc_back_len1344_factors_2_2_2_2_2_2_3_7_wgs_224_tpt_224_halfLds_dp_op_CI_CI_unitstride_sbrr_dirReg ; -- Begin function fft_rtc_back_len1344_factors_2_2_2_2_2_2_3_7_wgs_224_tpt_224_halfLds_dp_op_CI_CI_unitstride_sbrr_dirReg
	.globl	fft_rtc_back_len1344_factors_2_2_2_2_2_2_3_7_wgs_224_tpt_224_halfLds_dp_op_CI_CI_unitstride_sbrr_dirReg
	.p2align	8
	.type	fft_rtc_back_len1344_factors_2_2_2_2_2_2_3_7_wgs_224_tpt_224_halfLds_dp_op_CI_CI_unitstride_sbrr_dirReg,@function
fft_rtc_back_len1344_factors_2_2_2_2_2_2_3_7_wgs_224_tpt_224_halfLds_dp_op_CI_CI_unitstride_sbrr_dirReg: ; @fft_rtc_back_len1344_factors_2_2_2_2_2_2_3_7_wgs_224_tpt_224_halfLds_dp_op_CI_CI_unitstride_sbrr_dirReg
; %bb.0:
	s_load_dwordx4 s[4:7], s[0:1], 0x58
	s_load_dwordx4 s[8:11], s[0:1], 0x0
	;; [unrolled: 1-line block ×3, first 2 shown]
	v_mul_u32_u24_e32 v1, 0x125, v0
	v_add_u32_sdwa v6, s2, v1 dst_sel:DWORD dst_unused:UNUSED_PAD src0_sel:DWORD src1_sel:WORD_1
	v_mov_b32_e32 v2, 0
	s_waitcnt lgkmcnt(0)
	v_cmp_lt_u64_e64 s[2:3], s[10:11], 2
	v_mov_b32_e32 v7, v2
	s_and_b64 vcc, exec, s[2:3]
	v_mov_b64_e32 v[4:5], 0
	s_cbranch_vccnz .LBB0_8
; %bb.1:
	s_load_dwordx2 s[2:3], s[0:1], 0x10
	s_add_u32 s16, s14, 8
	s_addc_u32 s17, s15, 0
	s_add_u32 s18, s12, 8
	s_addc_u32 s19, s13, 0
	s_waitcnt lgkmcnt(0)
	s_add_u32 s20, s2, 8
	v_mov_b64_e32 v[4:5], 0
	s_addc_u32 s21, s3, 0
	s_mov_b64 s[22:23], 1
	v_mov_b64_e32 v[30:31], v[4:5]
.LBB0_2:                                ; =>This Inner Loop Header: Depth=1
	s_load_dwordx2 s[24:25], s[20:21], 0x0
                                        ; implicit-def: $vgpr34_vgpr35
	s_waitcnt lgkmcnt(0)
	v_or_b32_e32 v3, s25, v7
	v_cmp_ne_u64_e32 vcc, 0, v[2:3]
	s_and_saveexec_b64 s[2:3], vcc
	s_xor_b64 s[26:27], exec, s[2:3]
	s_cbranch_execz .LBB0_4
; %bb.3:                                ;   in Loop: Header=BB0_2 Depth=1
	v_cvt_f32_u32_e32 v1, s24
	v_cvt_f32_u32_e32 v3, s25
	s_sub_u32 s2, 0, s24
	s_subb_u32 s3, 0, s25
	v_fmac_f32_e32 v1, 0x4f800000, v3
	v_rcp_f32_e32 v1, v1
	s_nop 0
	v_mul_f32_e32 v1, 0x5f7ffffc, v1
	v_mul_f32_e32 v3, 0x2f800000, v1
	v_trunc_f32_e32 v3, v3
	v_fmac_f32_e32 v1, 0xcf800000, v3
	v_cvt_u32_f32_e32 v3, v3
	v_cvt_u32_f32_e32 v1, v1
	v_mul_lo_u32 v8, s2, v3
	v_mul_hi_u32 v10, s2, v1
	v_mul_lo_u32 v9, s3, v1
	v_add_u32_e32 v10, v10, v8
	v_mul_lo_u32 v12, s2, v1
	v_add_u32_e32 v13, v10, v9
	v_mul_hi_u32 v8, v1, v12
	v_mul_hi_u32 v11, v1, v13
	v_mul_lo_u32 v10, v1, v13
	v_mov_b32_e32 v9, v2
	v_lshl_add_u64 v[8:9], v[8:9], 0, v[10:11]
	v_mul_hi_u32 v11, v3, v12
	v_mul_lo_u32 v12, v3, v12
	v_add_co_u32_e32 v8, vcc, v8, v12
	v_mul_hi_u32 v10, v3, v13
	s_nop 0
	v_addc_co_u32_e32 v8, vcc, v9, v11, vcc
	v_mov_b32_e32 v9, v2
	s_nop 0
	v_addc_co_u32_e32 v11, vcc, 0, v10, vcc
	v_mul_lo_u32 v10, v3, v13
	v_lshl_add_u64 v[8:9], v[8:9], 0, v[10:11]
	v_add_co_u32_e32 v1, vcc, v1, v8
	v_mul_lo_u32 v10, s2, v1
	s_nop 0
	v_addc_co_u32_e32 v3, vcc, v3, v9, vcc
	v_mul_lo_u32 v8, s2, v3
	v_mul_hi_u32 v9, s2, v1
	v_add_u32_e32 v8, v9, v8
	v_mul_lo_u32 v9, s3, v1
	v_add_u32_e32 v12, v8, v9
	v_mul_hi_u32 v14, v3, v10
	v_mul_lo_u32 v15, v3, v10
	v_mul_hi_u32 v9, v1, v12
	v_mul_lo_u32 v8, v1, v12
	v_mul_hi_u32 v10, v1, v10
	v_mov_b32_e32 v11, v2
	v_lshl_add_u64 v[8:9], v[10:11], 0, v[8:9]
	v_add_co_u32_e32 v8, vcc, v8, v15
	v_mul_hi_u32 v13, v3, v12
	s_nop 0
	v_addc_co_u32_e32 v8, vcc, v9, v14, vcc
	v_mul_lo_u32 v10, v3, v12
	s_nop 0
	v_addc_co_u32_e32 v11, vcc, 0, v13, vcc
	v_mov_b32_e32 v9, v2
	v_lshl_add_u64 v[8:9], v[8:9], 0, v[10:11]
	v_add_co_u32_e32 v1, vcc, v1, v8
	v_mul_hi_u32 v10, v6, v1
	s_nop 0
	v_addc_co_u32_e32 v3, vcc, v3, v9, vcc
	v_mad_u64_u32 v[8:9], s[2:3], v6, v3, 0
	v_mov_b32_e32 v11, v2
	v_lshl_add_u64 v[8:9], v[10:11], 0, v[8:9]
	v_mad_u64_u32 v[12:13], s[2:3], v7, v1, 0
	v_add_co_u32_e32 v1, vcc, v8, v12
	v_mad_u64_u32 v[10:11], s[2:3], v7, v3, 0
	s_nop 0
	v_addc_co_u32_e32 v8, vcc, v9, v13, vcc
	v_mov_b32_e32 v9, v2
	s_nop 0
	v_addc_co_u32_e32 v11, vcc, 0, v11, vcc
	v_lshl_add_u64 v[8:9], v[8:9], 0, v[10:11]
	v_mul_lo_u32 v1, s25, v8
	v_mul_lo_u32 v3, s24, v9
	v_mad_u64_u32 v[10:11], s[2:3], s24, v8, 0
	v_add3_u32 v1, v11, v3, v1
	v_sub_u32_e32 v3, v7, v1
	v_mov_b32_e32 v11, s25
	v_sub_co_u32_e32 v14, vcc, v6, v10
	v_lshl_add_u64 v[12:13], v[8:9], 0, 1
	s_nop 0
	v_subb_co_u32_e64 v3, s[2:3], v3, v11, vcc
	v_subrev_co_u32_e64 v10, s[2:3], s24, v14
	v_subb_co_u32_e32 v1, vcc, v7, v1, vcc
	s_nop 0
	v_subbrev_co_u32_e64 v3, s[2:3], 0, v3, s[2:3]
	v_cmp_le_u32_e64 s[2:3], s25, v3
	v_cmp_le_u32_e32 vcc, s25, v1
	s_nop 0
	v_cndmask_b32_e64 v11, 0, -1, s[2:3]
	v_cmp_le_u32_e64 s[2:3], s24, v10
	s_nop 1
	v_cndmask_b32_e64 v10, 0, -1, s[2:3]
	v_cmp_eq_u32_e64 s[2:3], s25, v3
	s_nop 1
	v_cndmask_b32_e64 v3, v11, v10, s[2:3]
	v_lshl_add_u64 v[10:11], v[8:9], 0, 2
	v_cmp_ne_u32_e64 s[2:3], 0, v3
	s_nop 1
	v_cndmask_b32_e64 v3, v13, v11, s[2:3]
	v_cndmask_b32_e64 v11, 0, -1, vcc
	v_cmp_le_u32_e32 vcc, s24, v14
	s_nop 1
	v_cndmask_b32_e64 v13, 0, -1, vcc
	v_cmp_eq_u32_e32 vcc, s25, v1
	s_nop 1
	v_cndmask_b32_e32 v1, v11, v13, vcc
	v_cmp_ne_u32_e32 vcc, 0, v1
	v_cndmask_b32_e64 v1, v12, v10, s[2:3]
	s_nop 0
	v_cndmask_b32_e32 v35, v9, v3, vcc
	v_cndmask_b32_e32 v34, v8, v1, vcc
.LBB0_4:                                ;   in Loop: Header=BB0_2 Depth=1
	s_andn2_saveexec_b64 s[2:3], s[26:27]
	s_cbranch_execz .LBB0_6
; %bb.5:                                ;   in Loop: Header=BB0_2 Depth=1
	v_cvt_f32_u32_e32 v1, s24
	s_sub_i32 s26, 0, s24
	v_mov_b32_e32 v35, v2
	v_rcp_iflag_f32_e32 v1, v1
	s_nop 0
	v_mul_f32_e32 v1, 0x4f7ffffe, v1
	v_cvt_u32_f32_e32 v1, v1
	v_mul_lo_u32 v3, s26, v1
	v_mul_hi_u32 v3, v1, v3
	v_add_u32_e32 v1, v1, v3
	v_mul_hi_u32 v1, v6, v1
	v_mul_lo_u32 v3, v1, s24
	v_sub_u32_e32 v3, v6, v3
	v_add_u32_e32 v8, 1, v1
	v_subrev_u32_e32 v9, s24, v3
	v_cmp_le_u32_e32 vcc, s24, v3
	s_nop 1
	v_cndmask_b32_e32 v3, v3, v9, vcc
	v_cndmask_b32_e32 v1, v1, v8, vcc
	v_add_u32_e32 v8, 1, v1
	v_cmp_le_u32_e32 vcc, s24, v3
	s_nop 1
	v_cndmask_b32_e32 v34, v1, v8, vcc
.LBB0_6:                                ;   in Loop: Header=BB0_2 Depth=1
	s_or_b64 exec, exec, s[2:3]
	v_mad_u64_u32 v[8:9], s[2:3], v34, s24, 0
	s_load_dwordx2 s[2:3], s[18:19], 0x0
	v_mul_lo_u32 v1, v35, s24
	v_mul_lo_u32 v3, v34, s25
	s_load_dwordx2 s[24:25], s[16:17], 0x0
	s_add_u32 s22, s22, 1
	v_add3_u32 v1, v9, v3, v1
	v_sub_co_u32_e32 v3, vcc, v6, v8
	s_addc_u32 s23, s23, 0
	s_nop 0
	v_subb_co_u32_e32 v1, vcc, v7, v1, vcc
	s_add_u32 s16, s16, 8
	s_waitcnt lgkmcnt(0)
	v_mul_lo_u32 v6, s2, v1
	v_mul_lo_u32 v7, s3, v3
	v_mad_u64_u32 v[4:5], s[2:3], s2, v3, v[4:5]
	s_addc_u32 s17, s17, 0
	v_add3_u32 v5, v7, v5, v6
	v_mul_lo_u32 v1, s24, v1
	v_mul_lo_u32 v6, s25, v3
	v_mad_u64_u32 v[30:31], s[2:3], s24, v3, v[30:31]
	s_add_u32 s18, s18, 8
	v_add3_u32 v31, v6, v31, v1
	s_addc_u32 s19, s19, 0
	v_mov_b64_e32 v[6:7], s[10:11]
	s_add_u32 s20, s20, 8
	v_cmp_ge_u64_e32 vcc, s[22:23], v[6:7]
	s_addc_u32 s21, s21, 0
	s_cbranch_vccnz .LBB0_9
; %bb.7:                                ;   in Loop: Header=BB0_2 Depth=1
	v_mov_b64_e32 v[6:7], v[34:35]
	s_branch .LBB0_2
.LBB0_8:
	v_mov_b64_e32 v[30:31], v[4:5]
	v_mov_b64_e32 v[34:35], v[6:7]
.LBB0_9:
	s_load_dwordx2 s[18:19], s[0:1], 0x28
	s_lshl_b64 s[16:17], s[10:11], 3
	s_add_u32 s2, s14, s16
	s_addc_u32 s3, s15, s17
                                        ; implicit-def: $vgpr32
	s_waitcnt lgkmcnt(0)
	v_cmp_gt_u64_e64 s[0:1], s[18:19], v[34:35]
	v_cmp_le_u64_e32 vcc, s[18:19], v[34:35]
	s_and_saveexec_b64 s[10:11], vcc
	s_xor_b64 s[10:11], exec, s[10:11]
; %bb.10:
	s_mov_b32 s14, 0x124924a
	v_mul_hi_u32 v1, v0, s14
	v_mul_u32_u24_e32 v1, 0xe0, v1
	v_sub_u32_e32 v32, v0, v1
                                        ; implicit-def: $vgpr0
                                        ; implicit-def: $vgpr4_vgpr5
; %bb.11:
	s_or_saveexec_b64 s[10:11], s[10:11]
                                        ; implicit-def: $vgpr22_vgpr23
                                        ; implicit-def: $vgpr18_vgpr19
                                        ; implicit-def: $vgpr10_vgpr11
                                        ; implicit-def: $vgpr6_vgpr7
                                        ; implicit-def: $vgpr14_vgpr15
                                        ; implicit-def: $vgpr2_vgpr3
	s_xor_b64 exec, exec, s[10:11]
	s_cbranch_execz .LBB0_13
; %bb.12:
	s_add_u32 s12, s12, s16
	s_addc_u32 s13, s13, s17
	s_load_dwordx2 s[12:13], s[12:13], 0x0
	s_mov_b32 s14, 0x124924a
	s_waitcnt lgkmcnt(0)
	v_mul_lo_u32 v1, s13, v34
	v_mul_lo_u32 v6, s12, v35
	v_mad_u64_u32 v[2:3], s[12:13], s12, v34, 0
	v_add3_u32 v3, v3, v6, v1
	v_mul_hi_u32 v1, v0, s14
	v_mul_u32_u24_e32 v1, 0xe0, v1
	v_sub_u32_e32 v32, v0, v1
	v_lshl_add_u64 v[0:1], v[2:3], 4, s[4:5]
	v_lshl_add_u64 v[0:1], v[4:5], 4, v[0:1]
	v_lshlrev_b32_e32 v2, 4, v32
	v_mov_b32_e32 v3, 0
	v_lshl_add_u64 v[16:17], v[0:1], 0, v[2:3]
	s_movk_i32 s4, 0x2000
	v_add_co_u32_e32 v18, vcc, s4, v16
	s_movk_i32 s4, 0x3000
	s_nop 0
	v_addc_co_u32_e32 v19, vcc, 0, v17, vcc
	v_add_co_u32_e32 v20, vcc, s4, v16
	s_movk_i32 s4, 0x1000
	s_nop 0
	v_addc_co_u32_e32 v21, vcc, 0, v17, vcc
	v_add_co_u32_e32 v24, vcc, s4, v16
	global_load_dwordx4 v[0:3], v[16:17], off
	global_load_dwordx4 v[4:7], v[16:17], off offset:3584
	v_addc_co_u32_e32 v25, vcc, 0, v17, vcc
	v_add_co_u32_e32 v26, vcc, 0x4000, v16
	global_load_dwordx4 v[12:15], v[18:19], off offset:2560
	global_load_dwordx4 v[8:11], v[20:21], off offset:2048
	v_addc_co_u32_e32 v27, vcc, 0, v17, vcc
	global_load_dwordx4 v[16:19], v[24:25], off offset:3072
	global_load_dwordx4 v[20:23], v[26:27], off offset:1536
.LBB0_13:
	s_or_b64 exec, exec, s[10:11]
	s_waitcnt vmcnt(3)
	v_add_f64 v[38:39], v[2:3], -v[14:15]
	v_add_f64 v[26:27], v[0:1], -v[12:13]
	v_fma_f64 v[36:37], v[2:3], 2.0, -v[38:39]
	s_waitcnt vmcnt(2)
	v_add_f64 v[2:3], v[4:5], -v[8:9]
	v_fma_f64 v[24:25], v[0:1], 2.0, -v[26:27]
	v_fma_f64 v[0:1], v[4:5], 2.0, -v[2:3]
	v_add_u32_e32 v5, 0xe0, v32
	v_add_f64 v[42:43], v[6:7], -v[10:11]
	v_lshl_add_u32 v10, v5, 4, 0
	s_waitcnt vmcnt(0)
	v_add_f64 v[8:9], v[16:17], -v[20:21]
	ds_write_b128 v10, v[0:3]
	v_add_u32_e32 v1, 0x1c0, v32
	v_fma_f64 v[40:41], v[6:7], 2.0, -v[42:43]
	v_fma_f64 v[6:7], v[16:17], 2.0, -v[8:9]
	v_lshl_add_u32 v0, v1, 4, 0
	v_lshl_add_u32 v4, v32, 4, 0
	ds_write_b128 v0, v[6:9]
	v_lshlrev_b32_e32 v8, 3, v32
	v_sub_u32_e32 v6, v4, v8
	v_add_f64 v[20:21], v[18:19], -v[22:23]
	v_add_u32_e32 v7, 0xe00, v6
	v_add_u32_e32 v12, 0x1c00, v6
	v_and_b32_e32 v2, 1, v32
	s_load_dwordx2 s[4:5], s[2:3], 0x0
	v_fma_f64 v[18:19], v[18:19], 2.0, -v[20:21]
	ds_write_b128 v4, v[24:27]
	s_waitcnt lgkmcnt(0)
	s_barrier
	ds_read2_b64 v[14:17], v6 offset1:224
	ds_read2_b64 v[22:25], v7 offset1:224
	;; [unrolled: 1-line block ×3, first 2 shown]
	s_waitcnt lgkmcnt(0)
	s_barrier
	ds_write_b128 v4, v[36:39]
	ds_write_b128 v10, v[40:43]
	;; [unrolled: 1-line block ×3, first 2 shown]
	v_lshlrev_b32_e32 v0, 4, v2
	s_waitcnt lgkmcnt(0)
	s_barrier
	global_load_dwordx4 v[18:21], v0, s[8:9]
	ds_read2_b64 v[36:39], v6 offset1:224
	ds_read2_b64 v[40:43], v7 offset1:224
	;; [unrolled: 1-line block ×3, first 2 shown]
	v_lshlrev_b32_e32 v0, 1, v32
	s_movk_i32 s2, 0x1fc
	s_movk_i32 s3, 0x3fc
	;; [unrolled: 1-line block ×3, first 2 shown]
	v_lshlrev_b32_e32 v9, 1, v5
	v_lshlrev_b32_e32 v1, 1, v1
	v_and_or_b32 v3, v0, s2, v2
	v_lshl_add_u32 v13, v3, 3, 0
	v_and_or_b32 v3, v9, s3, v2
	v_and_or_b32 v2, v1, s10, v2
	v_lshl_add_u32 v33, v3, 3, 0
	v_lshl_add_u32 v54, v2, 3, 0
	s_waitcnt lgkmcnt(0)
	s_barrier
	s_movk_i32 s2, 0x1f8
	s_movk_i32 s3, 0x3f8
	s_movk_i32 s10, 0x7f8
	v_sub_u32_e32 v8, 0, v8
	s_mov_b32 s11, 0x3febb67a
	s_movk_i32 s12, 0xc0
	v_cmp_gt_u32_e32 vcc, s12, v32
	s_waitcnt vmcnt(0)
	v_mul_f64 v[2:3], v[42:43], v[20:21]
	v_mul_f64 v[48:49], v[44:45], v[20:21]
	;; [unrolled: 1-line block ×4, first 2 shown]
	v_fmac_f64_e32 v[2:3], v[24:25], v[18:19]
	v_mul_f64 v[10:11], v[24:25], v[20:21]
	v_mul_f64 v[20:21], v[28:29], v[20:21]
	v_fmac_f64_e32 v[48:49], v[26:27], v[18:19]
	v_fma_f64 v[24:25], v[44:45], v[18:19], -v[50:51]
	v_fmac_f64_e32 v[52:53], v[28:29], v[18:19]
	v_add_f64 v[2:3], v[14:15], -v[2:3]
	v_fma_f64 v[10:11], v[42:43], v[18:19], -v[10:11]
	v_fma_f64 v[18:19], v[46:47], v[18:19], -v[20:21]
	v_add_f64 v[20:21], v[16:17], -v[48:49]
	v_add_f64 v[26:27], v[38:39], -v[24:25]
	;; [unrolled: 1-line block ×3, first 2 shown]
	v_fma_f64 v[14:15], v[14:15], 2.0, -v[2:3]
	v_add_f64 v[10:11], v[36:37], -v[10:11]
	v_add_f64 v[28:29], v[40:41], -v[18:19]
	v_fma_f64 v[16:17], v[16:17], 2.0, -v[20:21]
	v_fma_f64 v[18:19], v[22:23], 2.0, -v[24:25]
	ds_write2_b64 v13, v[14:15], v[2:3] offset1:2
	ds_write2_b64 v33, v[16:17], v[20:21] offset1:2
	;; [unrolled: 1-line block ×3, first 2 shown]
	v_and_b32_e32 v2, 3, v32
	v_fma_f64 v[36:37], v[36:37], 2.0, -v[10:11]
	v_lshlrev_b32_e32 v3, 4, v2
	v_fma_f64 v[38:39], v[38:39], 2.0, -v[26:27]
	v_fma_f64 v[40:41], v[40:41], 2.0, -v[28:29]
	s_waitcnt lgkmcnt(0)
	s_barrier
	ds_read2_b64 v[14:17], v6 offset1:224
	ds_read2_b64 v[18:21], v7 offset1:224
	;; [unrolled: 1-line block ×3, first 2 shown]
	s_waitcnt lgkmcnt(0)
	s_barrier
	ds_write2_b64 v13, v[36:37], v[10:11] offset1:2
	ds_write2_b64 v33, v[38:39], v[26:27] offset1:2
	;; [unrolled: 1-line block ×3, first 2 shown]
	s_waitcnt lgkmcnt(0)
	s_barrier
	global_load_dwordx4 v[26:29], v3, s[8:9] offset:32
	ds_read2_b64 v[36:39], v6 offset1:224
	ds_read2_b64 v[40:43], v7 offset1:224
	;; [unrolled: 1-line block ×3, first 2 shown]
	v_and_or_b32 v3, v0, s2, v2
	v_lshl_add_u32 v54, v3, 3, 0
	v_and_or_b32 v3, v9, s3, v2
	v_and_or_b32 v2, v1, s10, v2
	v_lshl_add_u32 v55, v3, 3, 0
	v_lshl_add_u32 v56, v2, 3, 0
	v_and_b32_e32 v13, 7, v32
	v_lshlrev_b32_e32 v33, 4, v13
	s_waitcnt lgkmcnt(0)
	s_barrier
	s_movk_i32 s2, 0x1f0
	s_movk_i32 s3, 0x3f0
	;; [unrolled: 1-line block ×3, first 2 shown]
	s_waitcnt vmcnt(0)
	v_mul_f64 v[2:3], v[42:43], v[28:29]
	v_mul_f64 v[10:11], v[20:21], v[28:29]
	v_mul_f64 v[48:49], v[44:45], v[28:29]
	v_mul_f64 v[50:51], v[22:23], v[28:29]
	v_mul_f64 v[52:53], v[46:47], v[28:29]
	v_mul_f64 v[28:29], v[24:25], v[28:29]
	v_fmac_f64_e32 v[2:3], v[20:21], v[26:27]
	v_fma_f64 v[10:11], v[42:43], v[26:27], -v[10:11]
	v_fmac_f64_e32 v[48:49], v[22:23], v[26:27]
	v_fma_f64 v[20:21], v[44:45], v[26:27], -v[50:51]
	;; [unrolled: 2-line block ×3, first 2 shown]
	v_add_f64 v[2:3], v[14:15], -v[2:3]
	v_add_f64 v[10:11], v[36:37], -v[10:11]
	;; [unrolled: 1-line block ×6, first 2 shown]
	v_fma_f64 v[14:15], v[14:15], 2.0, -v[2:3]
	v_fma_f64 v[36:37], v[36:37], 2.0, -v[10:11]
	;; [unrolled: 1-line block ×6, first 2 shown]
	ds_write2_b64 v54, v[14:15], v[2:3] offset1:4
	ds_write2_b64 v55, v[16:17], v[24:25] offset1:4
	;; [unrolled: 1-line block ×3, first 2 shown]
	s_waitcnt lgkmcnt(0)
	s_barrier
	ds_read2_b64 v[14:17], v6 offset1:224
	ds_read2_b64 v[18:21], v7 offset1:224
	ds_read2_b64 v[22:25], v12 offset1:224
	s_waitcnt lgkmcnt(0)
	s_barrier
	ds_write2_b64 v54, v[36:37], v[10:11] offset1:4
	ds_write2_b64 v55, v[38:39], v[26:27] offset1:4
	ds_write2_b64 v56, v[40:41], v[28:29] offset1:4
	s_waitcnt lgkmcnt(0)
	s_barrier
	global_load_dwordx4 v[26:29], v33, s[8:9] offset:96
	ds_read2_b64 v[36:39], v6 offset1:224
	ds_read2_b64 v[40:43], v7 offset1:224
	;; [unrolled: 1-line block ×3, first 2 shown]
	v_and_or_b32 v2, v0, s2, v13
	v_lshl_add_u32 v55, v2, 3, 0
	v_and_or_b32 v2, v9, s3, v13
	v_and_or_b32 v3, v1, s10, v13
	v_lshl_add_u32 v13, v2, 3, 0
	v_lshl_add_u32 v56, v3, 3, 0
	v_and_b32_e32 v33, 15, v32
	v_lshlrev_b32_e32 v54, 4, v33
	s_waitcnt lgkmcnt(0)
	s_barrier
	s_movk_i32 s2, 0x1e0
	s_movk_i32 s3, 0x3e0
	;; [unrolled: 1-line block ×3, first 2 shown]
	s_waitcnt vmcnt(0)
	v_mul_f64 v[2:3], v[42:43], v[28:29]
	v_mul_f64 v[10:11], v[20:21], v[28:29]
	;; [unrolled: 1-line block ×6, first 2 shown]
	v_fmac_f64_e32 v[2:3], v[20:21], v[26:27]
	v_fma_f64 v[10:11], v[42:43], v[26:27], -v[10:11]
	v_fmac_f64_e32 v[48:49], v[22:23], v[26:27]
	v_fma_f64 v[20:21], v[44:45], v[26:27], -v[50:51]
	;; [unrolled: 2-line block ×3, first 2 shown]
	v_add_f64 v[2:3], v[14:15], -v[2:3]
	v_add_f64 v[10:11], v[36:37], -v[10:11]
	;; [unrolled: 1-line block ×6, first 2 shown]
	v_fma_f64 v[14:15], v[14:15], 2.0, -v[2:3]
	v_fma_f64 v[36:37], v[36:37], 2.0, -v[10:11]
	;; [unrolled: 1-line block ×6, first 2 shown]
	ds_write2_b64 v55, v[14:15], v[2:3] offset1:8
	ds_write2_b64 v13, v[16:17], v[24:25] offset1:8
	;; [unrolled: 1-line block ×3, first 2 shown]
	s_waitcnt lgkmcnt(0)
	s_barrier
	ds_read2_b64 v[14:17], v6 offset1:224
	ds_read2_b64 v[18:21], v7 offset1:224
	ds_read2_b64 v[22:25], v12 offset1:224
	s_waitcnt lgkmcnt(0)
	s_barrier
	ds_write2_b64 v55, v[36:37], v[10:11] offset1:8
	ds_write2_b64 v13, v[38:39], v[26:27] offset1:8
	;; [unrolled: 1-line block ×3, first 2 shown]
	s_waitcnt lgkmcnt(0)
	s_barrier
	global_load_dwordx4 v[26:29], v54, s[8:9] offset:224
	ds_read2_b64 v[36:39], v6 offset1:224
	ds_read2_b64 v[40:43], v7 offset1:224
	;; [unrolled: 1-line block ×3, first 2 shown]
	v_and_or_b32 v2, v0, s2, v33
	v_lshl_add_u32 v55, v2, 3, 0
	v_and_or_b32 v2, v9, s3, v33
	v_and_or_b32 v3, v1, s10, v33
	v_lshl_add_u32 v33, v2, 3, 0
	v_lshl_add_u32 v56, v3, 3, 0
	v_and_b32_e32 v13, 31, v32
	v_lshlrev_b32_e32 v54, 4, v13
	s_waitcnt lgkmcnt(0)
	s_barrier
	s_movk_i32 s2, 0x1c0
	s_movk_i32 s3, 0x3c0
	s_movk_i32 s10, 0x7c0
	v_and_or_b32 v0, v0, s2, v13
	v_and_or_b32 v1, v1, s10, v13
	s_waitcnt vmcnt(0)
	v_mul_f64 v[2:3], v[42:43], v[28:29]
	v_mul_f64 v[10:11], v[20:21], v[28:29]
	;; [unrolled: 1-line block ×6, first 2 shown]
	v_fmac_f64_e32 v[2:3], v[20:21], v[26:27]
	v_fma_f64 v[10:11], v[42:43], v[26:27], -v[10:11]
	v_fmac_f64_e32 v[48:49], v[22:23], v[26:27]
	v_fma_f64 v[20:21], v[44:45], v[26:27], -v[50:51]
	;; [unrolled: 2-line block ×3, first 2 shown]
	v_add_f64 v[2:3], v[14:15], -v[2:3]
	v_add_f64 v[10:11], v[36:37], -v[10:11]
	;; [unrolled: 1-line block ×6, first 2 shown]
	v_fma_f64 v[14:15], v[14:15], 2.0, -v[2:3]
	v_fma_f64 v[36:37], v[36:37], 2.0, -v[10:11]
	v_fma_f64 v[16:17], v[16:17], 2.0, -v[24:25]
	v_fma_f64 v[18:19], v[18:19], 2.0, -v[20:21]
	v_fma_f64 v[38:39], v[38:39], 2.0, -v[26:27]
	v_fma_f64 v[40:41], v[40:41], 2.0, -v[28:29]
	ds_write2_b64 v55, v[14:15], v[2:3] offset1:16
	ds_write2_b64 v33, v[16:17], v[24:25] offset1:16
	;; [unrolled: 1-line block ×3, first 2 shown]
	s_waitcnt lgkmcnt(0)
	s_barrier
	ds_read2_b64 v[14:17], v6 offset1:224
	ds_read2_b64 v[18:21], v7 offset1:224
	;; [unrolled: 1-line block ×3, first 2 shown]
	s_waitcnt lgkmcnt(0)
	s_barrier
	ds_write2_b64 v55, v[36:37], v[10:11] offset1:16
	ds_write2_b64 v33, v[38:39], v[26:27] offset1:16
	;; [unrolled: 1-line block ×3, first 2 shown]
	s_waitcnt lgkmcnt(0)
	s_barrier
	global_load_dwordx4 v[26:29], v54, s[8:9] offset:480
	v_lshl_add_u32 v53, v0, 3, 0
	v_and_or_b32 v0, v9, s3, v13
	v_lshl_add_u32 v9, v0, 3, 0
	v_lshl_add_u32 v13, v1, 3, 0
	ds_read2_b64 v[0:3], v6 offset1:224
	ds_read2_b64 v[36:39], v7 offset1:224
	;; [unrolled: 1-line block ×3, first 2 shown]
	v_and_b32_e32 v33, 63, v32
	s_waitcnt lgkmcnt(0)
	s_barrier
	v_lshlrev_b32_e32 v52, 5, v33
	s_mov_b32 s2, 0xe8584caa
	s_mov_b32 s3, 0xbfebb67a
	;; [unrolled: 1-line block ×3, first 2 shown]
	s_waitcnt vmcnt(0)
	v_mul_f64 v[10:11], v[38:39], v[28:29]
	v_mul_f64 v[44:45], v[20:21], v[28:29]
	;; [unrolled: 1-line block ×6, first 2 shown]
	v_fmac_f64_e32 v[10:11], v[20:21], v[26:27]
	v_fma_f64 v[20:21], v[38:39], v[26:27], -v[44:45]
	v_fmac_f64_e32 v[46:47], v[22:23], v[26:27]
	v_fma_f64 v[22:23], v[40:41], v[26:27], -v[48:49]
	;; [unrolled: 2-line block ×3, first 2 shown]
	v_add_f64 v[10:11], v[14:15], -v[10:11]
	v_add_f64 v[26:27], v[0:1], -v[20:21]
	;; [unrolled: 1-line block ×6, first 2 shown]
	v_fma_f64 v[14:15], v[14:15], 2.0, -v[10:11]
	v_fma_f64 v[38:39], v[0:1], 2.0, -v[26:27]
	;; [unrolled: 1-line block ×6, first 2 shown]
	ds_write2_b64 v53, v[14:15], v[10:11] offset1:32
	ds_write2_b64 v9, v[0:1], v[20:21] offset1:32
	;; [unrolled: 1-line block ×3, first 2 shown]
	s_waitcnt lgkmcnt(0)
	s_barrier
	ds_read2_b64 v[0:3], v6 offset1:224
	ds_read2_b64 v[14:17], v7 offset1:224
	;; [unrolled: 1-line block ×3, first 2 shown]
	s_waitcnt lgkmcnt(0)
	s_barrier
	ds_write2_b64 v53, v[38:39], v[26:27] offset1:32
	ds_write2_b64 v9, v[40:41], v[22:23] offset1:32
	;; [unrolled: 1-line block ×3, first 2 shown]
	v_and_b32_e32 v9, 63, v5
	v_lshlrev_b32_e32 v10, 5, v9
	s_waitcnt lgkmcnt(0)
	s_barrier
	global_load_dwordx4 v[36:39], v52, s[8:9] offset:992
	global_load_dwordx4 v[40:43], v52, s[8:9] offset:1008
	;; [unrolled: 1-line block ×3, first 2 shown]
	s_nop 0
	global_load_dwordx4 v[52:55], v10, s[8:9] offset:1008
	v_lshrrev_b32_e32 v10, 6, v32
	v_lshrrev_b32_e32 v5, 6, v5
	v_mul_u32_u24_e32 v10, 0xc0, v10
	v_mul_u32_u24_e32 v5, 0xc0, v5
	v_or_b32_e32 v10, v10, v33
	v_add_u32_e32 v33, v4, v8
	v_or_b32_e32 v4, v5, v9
	v_lshl_add_u32 v46, v10, 3, 0
	v_lshl_add_u32 v47, v4, 3, 0
	ds_read2_b64 v[8:11], v6 offset1:224
	ds_read2_b64 v[4:7], v7 offset1:224
	;; [unrolled: 1-line block ×3, first 2 shown]
	s_waitcnt lgkmcnt(0)
	s_barrier
	s_waitcnt vmcnt(3)
	v_mul_f64 v[28:29], v[4:5], v[38:39]
	v_mul_f64 v[12:13], v[14:15], v[38:39]
	s_waitcnt vmcnt(2)
	v_mul_f64 v[38:39], v[56:57], v[42:43]
	s_waitcnt vmcnt(1)
	;; [unrolled: 2-line block ×3, first 2 shown]
	v_mul_f64 v[24:25], v[58:59], v[54:55]
	v_mul_f64 v[42:43], v[18:19], v[42:43]
	;; [unrolled: 1-line block ×3, first 2 shown]
	v_fmac_f64_e32 v[28:29], v[14:15], v[36:37]
	v_fma_f64 v[26:27], v[4:5], v[36:37], -v[12:13]
	v_mul_f64 v[4:5], v[20:21], v[54:55]
	v_fmac_f64_e32 v[38:39], v[18:19], v[40:41]
	v_fmac_f64_e32 v[22:23], v[16:17], v[48:49]
	;; [unrolled: 1-line block ×3, first 2 shown]
	v_fma_f64 v[44:45], v[56:57], v[40:41], -v[42:43]
	v_fma_f64 v[40:41], v[6:7], v[48:49], -v[50:51]
	;; [unrolled: 1-line block ×3, first 2 shown]
	v_add_f64 v[6:7], v[28:29], v[38:39]
	v_add_f64 v[16:17], v[22:23], v[24:25]
	;; [unrolled: 1-line block ×3, first 2 shown]
	v_add_f64 v[12:13], v[26:27], -v[44:45]
	v_add_f64 v[14:15], v[2:3], v[22:23]
	v_add_f64 v[48:49], v[40:41], -v[42:43]
	v_fma_f64 v[18:19], -0.5, v[6:7], v[0:1]
	v_fmac_f64_e32 v[2:3], -0.5, v[16:17]
	v_add_f64 v[4:5], v[4:5], v[38:39]
	v_add_f64 v[20:21], v[14:15], v[24:25]
	v_fma_f64 v[6:7], s[2:3], v[12:13], v[18:19]
	v_fmac_f64_e32 v[18:19], s[10:11], v[12:13]
	v_fma_f64 v[36:37], s[2:3], v[48:49], v[2:3]
	v_fmac_f64_e32 v[2:3], s[10:11], v[48:49]
	v_lshl_add_u32 v0, v32, 3, 0
	ds_write2st64_b64 v46, v[4:5], v[6:7] offset1:1
	ds_write_b64 v46, v[18:19] offset:1024
	ds_write2st64_b64 v47, v[20:21], v[36:37] offset1:1
	ds_write_b64 v47, v[2:3] offset:1024
	s_waitcnt lgkmcnt(0)
	s_barrier
	s_waitcnt lgkmcnt(0)
                                        ; implicit-def: $vgpr16_vgpr17
	s_and_saveexec_b64 s[12:13], vcc
	s_cbranch_execz .LBB0_15
; %bb.14:
	ds_read2st64_b64 v[4:7], v33 offset1:3
	ds_read2st64_b64 v[18:21], v33 offset0:6 offset1:9
	ds_read2st64_b64 v[14:17], v33 offset0:15 offset1:18
	ds_read_b64 v[36:37], v0 offset:6144
	s_waitcnt lgkmcnt(1)
	v_mov_b64_e32 v[2:3], v[14:15]
.LBB0_15:
	s_or_b64 exec, exec, s[12:13]
	v_add_f64 v[14:15], v[26:27], v[44:45]
	v_add_f64 v[12:13], v[8:9], v[26:27]
	v_fma_f64 v[26:27], -0.5, v[14:15], v[8:9]
	v_add_f64 v[8:9], v[28:29], -v[38:39]
	v_fma_f64 v[14:15], s[10:11], v[8:9], v[26:27]
	v_fmac_f64_e32 v[26:27], s[2:3], v[8:9]
	v_add_f64 v[8:9], v[10:11], v[40:41]
	v_add_f64 v[28:29], v[8:9], v[42:43]
	;; [unrolled: 1-line block ×3, first 2 shown]
	v_fmac_f64_e32 v[10:11], -0.5, v[8:9]
	v_add_f64 v[22:23], v[22:23], -v[24:25]
	v_add_f64 v[12:13], v[12:13], v[44:45]
	v_fma_f64 v[8:9], s[10:11], v[22:23], v[10:11]
	v_fmac_f64_e32 v[10:11], s[2:3], v[22:23]
	s_waitcnt lgkmcnt(0)
	s_barrier
	ds_write2st64_b64 v46, v[12:13], v[14:15] offset1:1
	ds_write_b64 v46, v[26:27] offset:1024
	ds_write2st64_b64 v47, v[28:29], v[8:9] offset1:1
	ds_write_b64 v47, v[10:11] offset:1024
	s_waitcnt lgkmcnt(0)
	s_barrier
	s_waitcnt lgkmcnt(0)
                                        ; implicit-def: $vgpr24_vgpr25
	s_and_saveexec_b64 s[2:3], vcc
	s_cbranch_execz .LBB0_17
; %bb.16:
	ds_read2st64_b64 v[12:15], v33 offset1:3
	ds_read2st64_b64 v[26:29], v33 offset0:6 offset1:9
	ds_read2st64_b64 v[22:25], v33 offset0:15 offset1:18
	ds_read_b64 v[8:9], v0 offset:6144
	s_waitcnt lgkmcnt(1)
	v_mov_b64_e32 v[10:11], v[22:23]
.LBB0_17:
	s_or_b64 exec, exec, s[2:3]
	s_movk_i32 s2, 0xc0
	v_cmp_gt_u32_e64 s[2:3], s2, v32
	s_and_b64 s[0:1], s[0:1], s[2:3]
	s_and_saveexec_b64 s[2:3], s[0:1]
	s_cbranch_execz .LBB0_19
; %bb.18:
	v_add_u32_e32 v0, 0xffffff40, v32
	v_cndmask_b32_e32 v0, v0, v32, vcc
	v_mul_i32_i24_e32 v0, 6, v0
	v_mov_b32_e32 v1, 0
	v_lshl_add_u64 v[46:47], v[0:1], 4, s[8:9]
	global_load_dwordx4 v[38:41], v[46:47], off offset:3072
	global_load_dwordx4 v[42:45], v[46:47], off offset:3056
	v_mul_lo_u32 v0, s5, v34
	v_mul_lo_u32 v33, s4, v35
	s_mov_b32 s10, 0xe976ee23
	s_mov_b32 s11, 0x3fe11646
	;; [unrolled: 1-line block ×8, first 2 shown]
	s_waitcnt vmcnt(1)
	v_mul_f64 v[48:49], v[28:29], v[40:41]
	s_waitcnt vmcnt(0)
	v_mul_f64 v[52:53], v[26:27], v[44:45]
	v_mul_f64 v[22:23], v[20:21], v[40:41]
	v_fmac_f64_e32 v[52:53], v[18:19], v[42:43]
	v_mul_f64 v[18:19], v[18:19], v[44:45]
	v_fmac_f64_e32 v[48:49], v[20:21], v[38:39]
	v_fma_f64 v[50:51], v[28:29], v[38:39], -v[22:23]
	global_load_dwordx4 v[20:23], v[46:47], off offset:3040
	v_fma_f64 v[18:19], v[26:27], v[42:43], -v[18:19]
	global_load_dwordx4 v[26:29], v[46:47], off offset:3088
	global_load_dwordx4 v[38:41], v[46:47], off offset:3104
	v_mad_u64_u32 v[44:45], s[0:1], s4, v34, 0
	s_mov_b32 s4, 0x36b3c0b5
	s_mov_b32 s5, 0x3fac98ee
	;; [unrolled: 1-line block ×4, first 2 shown]
	v_add3_u32 v45, v45, v33, v0
	v_mov_b32_e32 v33, v1
	v_or_b32_e32 v0, 0x300, v32
	s_waitcnt vmcnt(1) lgkmcnt(0)
	v_mul_f64 v[42:43], v[8:9], v[28:29]
	v_mul_f64 v[28:29], v[36:37], v[28:29]
	v_fmac_f64_e32 v[42:43], v[36:37], v[26:27]
	v_fma_f64 v[8:9], v[8:9], v[26:27], -v[28:29]
	global_load_dwordx4 v[26:29], v[46:47], off offset:3120
	s_waitcnt vmcnt(1)
	v_mul_f64 v[34:35], v[10:11], v[40:41]
	v_fmac_f64_e32 v[34:35], v[2:3], v[38:39]
	v_mul_f64 v[2:3], v[2:3], v[40:41]
	v_mul_f64 v[36:37], v[14:15], v[22:23]
	;; [unrolled: 1-line block ×3, first 2 shown]
	v_fmac_f64_e32 v[36:37], v[6:7], v[20:21]
	v_fma_f64 v[2:3], v[10:11], v[38:39], -v[2:3]
	v_fma_f64 v[6:7], v[14:15], v[20:21], -v[22:23]
	v_add_f64 v[14:15], v[42:43], -v[48:49]
	v_add_f64 v[22:23], v[8:9], v[50:51]
	v_add_f64 v[8:9], v[8:9], -v[50:51]
	s_waitcnt vmcnt(0)
	v_mul_f64 v[40:41], v[24:25], v[28:29]
	v_fmac_f64_e32 v[40:41], v[16:17], v[26:27]
	v_mul_f64 v[16:17], v[16:17], v[28:29]
	v_fma_f64 v[10:11], v[24:25], v[26:27], -v[16:17]
	v_add_f64 v[16:17], v[52:53], -v[34:35]
	v_add_f64 v[24:25], v[18:19], v[2:3]
	v_add_f64 v[26:27], v[6:7], v[10:11]
	v_add_f64 v[2:3], v[18:19], -v[2:3]
	v_add_f64 v[20:21], v[36:37], -v[40:41]
	v_add_f64 v[28:29], v[42:43], v[48:49]
	v_add_f64 v[34:35], v[52:53], v[34:35]
	;; [unrolled: 1-line block ×3, first 2 shown]
	v_add_f64 v[18:19], v[6:7], -v[10:11]
	v_add_f64 v[10:11], v[14:15], -v[16:17]
	v_add_f64 v[42:43], v[24:25], v[26:27]
	v_add_f64 v[48:49], v[8:9], -v[2:3]
	v_add_f64 v[46:47], v[34:35], v[36:37]
	v_mul_f64 v[52:53], v[10:11], s[10:11]
	v_add_f64 v[10:11], v[22:23], v[42:43]
	v_mul_f64 v[42:43], v[48:49], s[10:11]
	s_mov_b32 s10, 0x429ad128
	v_add_f64 v[6:7], v[14:15], v[16:17]
	v_add_f64 v[14:15], v[20:21], -v[14:15]
	v_add_f64 v[38:39], v[22:23], -v[24:25]
	;; [unrolled: 1-line block ×5, first 2 shown]
	v_add_f64 v[22:23], v[28:29], v[46:47]
	s_mov_b32 s11, 0xbfebfeb5
	v_add_f64 v[20:21], v[6:7], v[20:21]
	v_fma_f64 v[46:47], s[2:3], v[14:15], v[52:53]
	v_add_f64 v[6:7], v[12:13], v[10:11]
	v_add_f64 v[4:5], v[4:5], v[22:23]
	v_fma_f64 v[48:49], s[2:3], v[50:51], v[42:43]
	v_mul_f64 v[12:13], v[16:17], s[10:11]
	s_mov_b32 s3, 0x3fd5d0dc
	v_mov_b64_e32 v[58:59], v[4:5]
	v_fma_f64 v[60:61], v[14:15], s[2:3], -v[12:13]
	v_add_f64 v[14:15], v[36:37], -v[28:29]
	v_mul_f64 v[40:41], v[40:41], s[8:9]
	v_fmac_f64_e32 v[58:59], s[12:13], v[22:23]
	v_add_f64 v[12:13], v[28:29], -v[34:35]
	v_add_f64 v[22:23], v[24:25], -v[26:27]
	v_mul_f64 v[26:27], v[14:15], s[8:9]
	v_mul_f64 v[54:55], v[38:39], s[4:5]
	v_fma_f64 v[38:39], s[4:5], v[38:39], v[40:41]
	v_mov_b64_e32 v[56:57], v[6:7]
	v_mul_f64 v[24:25], v[12:13], s[4:5]
	v_fma_f64 v[12:13], s[4:5], v[12:13], v[26:27]
	s_mov_b32 s5, 0xbfe77f67
	s_mov_b32 s4, 0x5476071b
	v_fmac_f64_e32 v[56:57], s[12:13], v[10:11]
	v_add_f64 v[28:29], v[12:13], v[58:59]
	v_add_f64 v[8:9], v[8:9], v[2:3]
	v_fma_f64 v[12:13], v[22:23], s[4:5], -v[40:41]
	v_add_f64 v[2:3], v[2:3], -v[18:19]
	v_add_f64 v[40:41], v[12:13], v[56:57]
	v_add_f64 v[34:35], v[34:35], -v[36:37]
	v_mul_f64 v[12:13], v[2:3], s[10:11]
	v_fma_f64 v[36:37], v[50:51], s[2:3], -v[12:13]
	v_fma_f64 v[12:13], v[34:35], s[4:5], -v[26:27]
	s_mov_b32 s5, 0x3fe77f67
	v_add_f64 v[62:63], v[8:9], v[18:19]
	v_fma_f64 v[26:27], v[16:17], s[10:11], -v[52:53]
	v_fma_f64 v[2:3], v[2:3], s[10:11], -v[42:43]
	;; [unrolled: 1-line block ×3, first 2 shown]
	v_fmac_f64_e32 v[46:47], s[0:1], v[20:21]
	v_fmac_f64_e32 v[60:61], s[0:1], v[20:21]
	;; [unrolled: 1-line block ×4, first 2 shown]
	v_add_f64 v[20:21], v[16:17], v[58:59]
	v_add_f64 v[16:17], v[2:3], v[20:21]
	v_add_f64 v[20:21], v[20:21], -v[2:3]
	v_lshl_add_u64 v[2:3], v[44:45], 4, s[6:7]
	v_fmac_f64_e32 v[48:49], s[0:1], v[62:63]
	v_lshl_add_u64 v[2:3], v[30:31], 4, v[2:3]
	v_add_f64 v[38:39], v[38:39], v[56:57]
	v_add_f64 v[8:9], v[28:29], -v[48:49]
	v_add_f64 v[50:51], v[12:13], v[58:59]
	v_fmac_f64_e32 v[36:37], s[0:1], v[62:63]
	v_fma_f64 v[18:19], v[22:23], s[4:5], -v[54:55]
	v_add_f64 v[34:35], v[48:49], v[28:29]
	v_lshl_add_u64 v[28:29], v[32:33], 4, v[2:3]
	s_movk_i32 s0, 0x1000
	v_add_f64 v[12:13], v[50:51], -v[36:37]
	v_add_f64 v[22:23], v[18:19], v[56:57]
	v_add_f64 v[24:25], v[36:37], v[50:51]
	v_add_f64 v[36:37], v[38:39], -v[46:47]
	global_store_dwordx4 v[28:29], v[4:7], off
	global_store_dwordx4 v[28:29], v[34:37], off offset:3072
	v_add_f64 v[18:19], v[22:23], -v[26:27]
	v_add_co_u32_e32 v4, vcc, s0, v28
	v_add_f64 v[22:23], v[26:27], v[22:23]
	v_add_f64 v[26:27], v[40:41], -v[60:61]
	v_addc_co_u32_e32 v5, vcc, 0, v29, vcc
	s_movk_i32 s0, 0x2000
	global_store_dwordx4 v[4:5], v[24:27], off offset:2048
	v_add_co_u32_e32 v4, vcc, s0, v28
	v_lshl_add_u64 v[0:1], v[0:1], 4, v[2:3]
	s_nop 0
	v_addc_co_u32_e32 v5, vcc, 0, v29, vcc
	global_store_dwordx4 v[0:1], v[16:19], off
	v_add_co_u32_e32 v0, vcc, 0x3000, v28
	v_add_f64 v[14:15], v[60:61], v[40:41]
	s_nop 0
	v_addc_co_u32_e32 v1, vcc, 0, v29, vcc
	global_store_dwordx4 v[0:1], v[12:15], off offset:3072
	v_add_co_u32_e32 v0, vcc, 0x4000, v28
	v_add_f64 v[10:11], v[46:47], v[38:39]
	s_nop 0
	v_addc_co_u32_e32 v1, vcc, 0, v29, vcc
	global_store_dwordx4 v[4:5], v[20:23], off offset:1024
	global_store_dwordx4 v[0:1], v[8:11], off offset:2048
.LBB0_19:
	s_endpgm
	.section	.rodata,"a",@progbits
	.p2align	6, 0x0
	.amdhsa_kernel fft_rtc_back_len1344_factors_2_2_2_2_2_2_3_7_wgs_224_tpt_224_halfLds_dp_op_CI_CI_unitstride_sbrr_dirReg
		.amdhsa_group_segment_fixed_size 0
		.amdhsa_private_segment_fixed_size 0
		.amdhsa_kernarg_size 104
		.amdhsa_user_sgpr_count 2
		.amdhsa_user_sgpr_dispatch_ptr 0
		.amdhsa_user_sgpr_queue_ptr 0
		.amdhsa_user_sgpr_kernarg_segment_ptr 1
		.amdhsa_user_sgpr_dispatch_id 0
		.amdhsa_user_sgpr_kernarg_preload_length 0
		.amdhsa_user_sgpr_kernarg_preload_offset 0
		.amdhsa_user_sgpr_private_segment_size 0
		.amdhsa_uses_dynamic_stack 0
		.amdhsa_enable_private_segment 0
		.amdhsa_system_sgpr_workgroup_id_x 1
		.amdhsa_system_sgpr_workgroup_id_y 0
		.amdhsa_system_sgpr_workgroup_id_z 0
		.amdhsa_system_sgpr_workgroup_info 0
		.amdhsa_system_vgpr_workitem_id 0
		.amdhsa_next_free_vgpr 64
		.amdhsa_next_free_sgpr 28
		.amdhsa_accum_offset 64
		.amdhsa_reserve_vcc 1
		.amdhsa_float_round_mode_32 0
		.amdhsa_float_round_mode_16_64 0
		.amdhsa_float_denorm_mode_32 3
		.amdhsa_float_denorm_mode_16_64 3
		.amdhsa_dx10_clamp 1
		.amdhsa_ieee_mode 1
		.amdhsa_fp16_overflow 0
		.amdhsa_tg_split 0
		.amdhsa_exception_fp_ieee_invalid_op 0
		.amdhsa_exception_fp_denorm_src 0
		.amdhsa_exception_fp_ieee_div_zero 0
		.amdhsa_exception_fp_ieee_overflow 0
		.amdhsa_exception_fp_ieee_underflow 0
		.amdhsa_exception_fp_ieee_inexact 0
		.amdhsa_exception_int_div_zero 0
	.end_amdhsa_kernel
	.text
.Lfunc_end0:
	.size	fft_rtc_back_len1344_factors_2_2_2_2_2_2_3_7_wgs_224_tpt_224_halfLds_dp_op_CI_CI_unitstride_sbrr_dirReg, .Lfunc_end0-fft_rtc_back_len1344_factors_2_2_2_2_2_2_3_7_wgs_224_tpt_224_halfLds_dp_op_CI_CI_unitstride_sbrr_dirReg
                                        ; -- End function
	.section	.AMDGPU.csdata,"",@progbits
; Kernel info:
; codeLenInByte = 5640
; NumSgprs: 34
; NumVgprs: 64
; NumAgprs: 0
; TotalNumVgprs: 64
; ScratchSize: 0
; MemoryBound: 1
; FloatMode: 240
; IeeeMode: 1
; LDSByteSize: 0 bytes/workgroup (compile time only)
; SGPRBlocks: 4
; VGPRBlocks: 7
; NumSGPRsForWavesPerEU: 34
; NumVGPRsForWavesPerEU: 64
; AccumOffset: 64
; Occupancy: 8
; WaveLimiterHint : 1
; COMPUTE_PGM_RSRC2:SCRATCH_EN: 0
; COMPUTE_PGM_RSRC2:USER_SGPR: 2
; COMPUTE_PGM_RSRC2:TRAP_HANDLER: 0
; COMPUTE_PGM_RSRC2:TGID_X_EN: 1
; COMPUTE_PGM_RSRC2:TGID_Y_EN: 0
; COMPUTE_PGM_RSRC2:TGID_Z_EN: 0
; COMPUTE_PGM_RSRC2:TIDIG_COMP_CNT: 0
; COMPUTE_PGM_RSRC3_GFX90A:ACCUM_OFFSET: 15
; COMPUTE_PGM_RSRC3_GFX90A:TG_SPLIT: 0
	.text
	.p2alignl 6, 3212836864
	.fill 256, 4, 3212836864
	.type	__hip_cuid_33e24320533e4d4b,@object ; @__hip_cuid_33e24320533e4d4b
	.section	.bss,"aw",@nobits
	.globl	__hip_cuid_33e24320533e4d4b
__hip_cuid_33e24320533e4d4b:
	.byte	0                               ; 0x0
	.size	__hip_cuid_33e24320533e4d4b, 1

	.ident	"AMD clang version 19.0.0git (https://github.com/RadeonOpenCompute/llvm-project roc-6.4.0 25133 c7fe45cf4b819c5991fe208aaa96edf142730f1d)"
	.section	".note.GNU-stack","",@progbits
	.addrsig
	.addrsig_sym __hip_cuid_33e24320533e4d4b
	.amdgpu_metadata
---
amdhsa.kernels:
  - .agpr_count:     0
    .args:
      - .actual_access:  read_only
        .address_space:  global
        .offset:         0
        .size:           8
        .value_kind:     global_buffer
      - .offset:         8
        .size:           8
        .value_kind:     by_value
      - .actual_access:  read_only
        .address_space:  global
        .offset:         16
        .size:           8
        .value_kind:     global_buffer
      - .actual_access:  read_only
        .address_space:  global
        .offset:         24
        .size:           8
        .value_kind:     global_buffer
      - .actual_access:  read_only
        .address_space:  global
        .offset:         32
        .size:           8
        .value_kind:     global_buffer
      - .offset:         40
        .size:           8
        .value_kind:     by_value
      - .actual_access:  read_only
        .address_space:  global
        .offset:         48
        .size:           8
        .value_kind:     global_buffer
      - .actual_access:  read_only
        .address_space:  global
        .offset:         56
        .size:           8
        .value_kind:     global_buffer
      - .offset:         64
        .size:           4
        .value_kind:     by_value
      - .actual_access:  read_only
        .address_space:  global
        .offset:         72
        .size:           8
        .value_kind:     global_buffer
      - .actual_access:  read_only
        .address_space:  global
        .offset:         80
        .size:           8
        .value_kind:     global_buffer
      - .actual_access:  read_only
        .address_space:  global
        .offset:         88
        .size:           8
        .value_kind:     global_buffer
      - .actual_access:  write_only
        .address_space:  global
        .offset:         96
        .size:           8
        .value_kind:     global_buffer
    .group_segment_fixed_size: 0
    .kernarg_segment_align: 8
    .kernarg_segment_size: 104
    .language:       OpenCL C
    .language_version:
      - 2
      - 0
    .max_flat_workgroup_size: 224
    .name:           fft_rtc_back_len1344_factors_2_2_2_2_2_2_3_7_wgs_224_tpt_224_halfLds_dp_op_CI_CI_unitstride_sbrr_dirReg
    .private_segment_fixed_size: 0
    .sgpr_count:     34
    .sgpr_spill_count: 0
    .symbol:         fft_rtc_back_len1344_factors_2_2_2_2_2_2_3_7_wgs_224_tpt_224_halfLds_dp_op_CI_CI_unitstride_sbrr_dirReg.kd
    .uniform_work_group_size: 1
    .uses_dynamic_stack: false
    .vgpr_count:     64
    .vgpr_spill_count: 0
    .wavefront_size: 64
amdhsa.target:   amdgcn-amd-amdhsa--gfx950
amdhsa.version:
  - 1
  - 2
...

	.end_amdgpu_metadata
